;; amdgpu-corpus repo=ROCm/rocFFT kind=compiled arch=gfx906 opt=O3
	.text
	.amdgcn_target "amdgcn-amd-amdhsa--gfx906"
	.amdhsa_code_object_version 6
	.protected	fft_rtc_back_len147_factors_7_7_3_wgs_63_tpt_21_sp_ip_CI_sbrr_dirReg ; -- Begin function fft_rtc_back_len147_factors_7_7_3_wgs_63_tpt_21_sp_ip_CI_sbrr_dirReg
	.globl	fft_rtc_back_len147_factors_7_7_3_wgs_63_tpt_21_sp_ip_CI_sbrr_dirReg
	.p2align	8
	.type	fft_rtc_back_len147_factors_7_7_3_wgs_63_tpt_21_sp_ip_CI_sbrr_dirReg,@function
fft_rtc_back_len147_factors_7_7_3_wgs_63_tpt_21_sp_ip_CI_sbrr_dirReg: ; @fft_rtc_back_len147_factors_7_7_3_wgs_63_tpt_21_sp_ip_CI_sbrr_dirReg
; %bb.0:
	s_load_dwordx2 s[2:3], s[4:5], 0x18
	s_load_dwordx4 s[8:11], s[4:5], 0x0
	s_load_dwordx2 s[14:15], s[4:5], 0x50
	v_mul_u32_u24_e32 v1, 0xc31, v0
	v_lshrrev_b32_e32 v1, 16, v1
	s_waitcnt lgkmcnt(0)
	s_load_dwordx2 s[12:13], s[2:3], 0x0
	v_mad_u64_u32 v[1:2], s[0:1], s6, 3, v[1:2]
	v_mov_b32_e32 v5, 0
	v_cmp_lt_u64_e64 s[0:1], s[10:11], 2
	v_mov_b32_e32 v2, v5
	v_mov_b32_e32 v3, 0
	;; [unrolled: 1-line block ×3, first 2 shown]
	s_and_b64 vcc, exec, s[0:1]
	v_mov_b32_e32 v4, 0
	v_mov_b32_e32 v9, v1
	s_cbranch_vccnz .LBB0_8
; %bb.1:
	s_load_dwordx2 s[0:1], s[4:5], 0x10
	s_add_u32 s6, s2, 8
	s_addc_u32 s7, s3, 0
	v_mov_b32_e32 v3, 0
	v_mov_b32_e32 v8, v2
	s_waitcnt lgkmcnt(0)
	s_add_u32 s18, s0, 8
	s_mov_b64 s[16:17], 1
	v_mov_b32_e32 v4, 0
	s_addc_u32 s19, s1, 0
	v_mov_b32_e32 v7, v1
.LBB0_2:                                ; =>This Inner Loop Header: Depth=1
	s_load_dwordx2 s[20:21], s[18:19], 0x0
                                        ; implicit-def: $vgpr9_vgpr10
	s_waitcnt lgkmcnt(0)
	v_or_b32_e32 v6, s21, v8
	v_cmp_ne_u64_e32 vcc, 0, v[5:6]
	s_and_saveexec_b64 s[0:1], vcc
	s_xor_b64 s[22:23], exec, s[0:1]
	s_cbranch_execz .LBB0_4
; %bb.3:                                ;   in Loop: Header=BB0_2 Depth=1
	v_cvt_f32_u32_e32 v2, s20
	v_cvt_f32_u32_e32 v6, s21
	s_sub_u32 s0, 0, s20
	s_subb_u32 s1, 0, s21
	v_mac_f32_e32 v2, 0x4f800000, v6
	v_rcp_f32_e32 v2, v2
	v_mul_f32_e32 v2, 0x5f7ffffc, v2
	v_mul_f32_e32 v6, 0x2f800000, v2
	v_trunc_f32_e32 v6, v6
	v_mac_f32_e32 v2, 0xcf800000, v6
	v_cvt_u32_f32_e32 v6, v6
	v_cvt_u32_f32_e32 v2, v2
	v_mul_lo_u32 v9, s0, v6
	v_mul_hi_u32 v10, s0, v2
	v_mul_lo_u32 v12, s1, v2
	v_mul_lo_u32 v11, s0, v2
	v_add_u32_e32 v9, v10, v9
	v_add_u32_e32 v9, v9, v12
	v_mul_hi_u32 v10, v2, v11
	v_mul_lo_u32 v12, v2, v9
	v_mul_hi_u32 v14, v2, v9
	v_mul_hi_u32 v13, v6, v11
	v_mul_lo_u32 v11, v6, v11
	v_mul_hi_u32 v15, v6, v9
	v_add_co_u32_e32 v10, vcc, v10, v12
	v_addc_co_u32_e32 v12, vcc, 0, v14, vcc
	v_mul_lo_u32 v9, v6, v9
	v_add_co_u32_e32 v10, vcc, v10, v11
	v_addc_co_u32_e32 v10, vcc, v12, v13, vcc
	v_addc_co_u32_e32 v11, vcc, 0, v15, vcc
	v_add_co_u32_e32 v9, vcc, v10, v9
	v_addc_co_u32_e32 v10, vcc, 0, v11, vcc
	v_add_co_u32_e32 v2, vcc, v2, v9
	v_addc_co_u32_e32 v6, vcc, v6, v10, vcc
	v_mul_lo_u32 v9, s0, v6
	v_mul_hi_u32 v10, s0, v2
	v_mul_lo_u32 v11, s1, v2
	v_mul_lo_u32 v12, s0, v2
	v_add_u32_e32 v9, v10, v9
	v_add_u32_e32 v9, v9, v11
	v_mul_lo_u32 v13, v2, v9
	v_mul_hi_u32 v14, v2, v12
	v_mul_hi_u32 v15, v2, v9
	;; [unrolled: 1-line block ×3, first 2 shown]
	v_mul_lo_u32 v12, v6, v12
	v_mul_hi_u32 v10, v6, v9
	v_add_co_u32_e32 v13, vcc, v14, v13
	v_addc_co_u32_e32 v14, vcc, 0, v15, vcc
	v_mul_lo_u32 v9, v6, v9
	v_add_co_u32_e32 v12, vcc, v13, v12
	v_addc_co_u32_e32 v11, vcc, v14, v11, vcc
	v_addc_co_u32_e32 v10, vcc, 0, v10, vcc
	v_add_co_u32_e32 v9, vcc, v11, v9
	v_addc_co_u32_e32 v10, vcc, 0, v10, vcc
	v_add_co_u32_e32 v2, vcc, v2, v9
	v_addc_co_u32_e32 v6, vcc, v6, v10, vcc
	v_mad_u64_u32 v[9:10], s[0:1], v7, v6, 0
	v_mul_hi_u32 v11, v7, v2
	v_add_co_u32_e32 v13, vcc, v11, v9
	v_addc_co_u32_e32 v14, vcc, 0, v10, vcc
	v_mad_u64_u32 v[9:10], s[0:1], v8, v2, 0
	v_mad_u64_u32 v[11:12], s[0:1], v8, v6, 0
	v_add_co_u32_e32 v2, vcc, v13, v9
	v_addc_co_u32_e32 v2, vcc, v14, v10, vcc
	v_addc_co_u32_e32 v6, vcc, 0, v12, vcc
	v_add_co_u32_e32 v2, vcc, v2, v11
	v_addc_co_u32_e32 v6, vcc, 0, v6, vcc
	v_mul_lo_u32 v11, s21, v2
	v_mul_lo_u32 v12, s20, v6
	v_mad_u64_u32 v[9:10], s[0:1], s20, v2, 0
	v_add3_u32 v10, v10, v12, v11
	v_sub_u32_e32 v11, v8, v10
	v_mov_b32_e32 v12, s21
	v_sub_co_u32_e32 v9, vcc, v7, v9
	v_subb_co_u32_e64 v11, s[0:1], v11, v12, vcc
	v_subrev_co_u32_e64 v12, s[0:1], s20, v9
	v_subbrev_co_u32_e64 v11, s[0:1], 0, v11, s[0:1]
	v_cmp_le_u32_e64 s[0:1], s21, v11
	v_cndmask_b32_e64 v13, 0, -1, s[0:1]
	v_cmp_le_u32_e64 s[0:1], s20, v12
	v_cndmask_b32_e64 v12, 0, -1, s[0:1]
	v_cmp_eq_u32_e64 s[0:1], s21, v11
	v_cndmask_b32_e64 v11, v13, v12, s[0:1]
	v_add_co_u32_e64 v12, s[0:1], 2, v2
	v_addc_co_u32_e64 v13, s[0:1], 0, v6, s[0:1]
	v_add_co_u32_e64 v14, s[0:1], 1, v2
	v_addc_co_u32_e64 v15, s[0:1], 0, v6, s[0:1]
	v_subb_co_u32_e32 v10, vcc, v8, v10, vcc
	v_cmp_ne_u32_e64 s[0:1], 0, v11
	v_cmp_le_u32_e32 vcc, s21, v10
	v_cndmask_b32_e64 v11, v15, v13, s[0:1]
	v_cndmask_b32_e64 v13, 0, -1, vcc
	v_cmp_le_u32_e32 vcc, s20, v9
	v_cndmask_b32_e64 v9, 0, -1, vcc
	v_cmp_eq_u32_e32 vcc, s21, v10
	v_cndmask_b32_e32 v9, v13, v9, vcc
	v_cmp_ne_u32_e32 vcc, 0, v9
	v_cndmask_b32_e32 v10, v6, v11, vcc
	v_cndmask_b32_e64 v6, v14, v12, s[0:1]
	v_cndmask_b32_e32 v9, v2, v6, vcc
.LBB0_4:                                ;   in Loop: Header=BB0_2 Depth=1
	s_andn2_saveexec_b64 s[0:1], s[22:23]
	s_cbranch_execz .LBB0_6
; %bb.5:                                ;   in Loop: Header=BB0_2 Depth=1
	v_cvt_f32_u32_e32 v2, s20
	s_sub_i32 s22, 0, s20
	v_rcp_iflag_f32_e32 v2, v2
	v_mul_f32_e32 v2, 0x4f7ffffe, v2
	v_cvt_u32_f32_e32 v2, v2
	v_mul_lo_u32 v6, s22, v2
	v_mul_hi_u32 v6, v2, v6
	v_add_u32_e32 v2, v2, v6
	v_mul_hi_u32 v2, v7, v2
	v_mul_lo_u32 v6, v2, s20
	v_add_u32_e32 v9, 1, v2
	v_sub_u32_e32 v6, v7, v6
	v_subrev_u32_e32 v10, s20, v6
	v_cmp_le_u32_e32 vcc, s20, v6
	v_cndmask_b32_e32 v6, v6, v10, vcc
	v_cndmask_b32_e32 v2, v2, v9, vcc
	v_add_u32_e32 v9, 1, v2
	v_cmp_le_u32_e32 vcc, s20, v6
	v_cndmask_b32_e32 v9, v2, v9, vcc
	v_mov_b32_e32 v10, v5
.LBB0_6:                                ;   in Loop: Header=BB0_2 Depth=1
	s_or_b64 exec, exec, s[0:1]
	v_mul_lo_u32 v2, v10, s20
	v_mul_lo_u32 v6, v9, s21
	v_mad_u64_u32 v[11:12], s[0:1], v9, s20, 0
	s_load_dwordx2 s[0:1], s[6:7], 0x0
	s_add_u32 s16, s16, 1
	v_add3_u32 v2, v12, v6, v2
	v_sub_co_u32_e32 v6, vcc, v7, v11
	v_subb_co_u32_e32 v2, vcc, v8, v2, vcc
	s_waitcnt lgkmcnt(0)
	v_mul_lo_u32 v2, s0, v2
	v_mul_lo_u32 v7, s1, v6
	v_mad_u64_u32 v[3:4], s[0:1], s0, v6, v[3:4]
	s_addc_u32 s17, s17, 0
	s_add_u32 s6, s6, 8
	v_add3_u32 v4, v7, v4, v2
	v_mov_b32_e32 v6, s10
	v_mov_b32_e32 v7, s11
	s_addc_u32 s7, s7, 0
	v_cmp_ge_u64_e32 vcc, s[16:17], v[6:7]
	s_add_u32 s18, s18, 8
	s_addc_u32 s19, s19, 0
	s_cbranch_vccnz .LBB0_8
; %bb.7:                                ;   in Loop: Header=BB0_2 Depth=1
	v_mov_b32_e32 v7, v9
	v_mov_b32_e32 v8, v10
	s_branch .LBB0_2
.LBB0_8:
	s_lshl_b64 s[0:1], s[10:11], 3
	s_add_u32 s0, s2, s0
	s_addc_u32 s1, s3, s1
	s_load_dwordx2 s[0:1], s[0:1], 0x0
	s_mov_b32 s2, 0xaaaaaaab
	v_mul_hi_u32 v5, v1, s2
	s_mov_b32 s2, 0xc30c30d
                                        ; implicit-def: $vgpr29
                                        ; implicit-def: $vgpr28
	s_waitcnt lgkmcnt(0)
	v_mul_lo_u32 v6, s0, v10
	v_mul_lo_u32 v7, s1, v9
	v_mad_u64_u32 v[2:3], s[0:1], s0, v9, v[3:4]
	s_load_dwordx2 s[0:1], s[4:5], 0x20
	v_lshrrev_b32_e32 v4, 1, v5
	v_mul_hi_u32 v5, v0, s2
	v_lshl_add_u32 v4, v4, 1, v4
	v_sub_u32_e32 v1, v1, v4
	s_waitcnt lgkmcnt(0)
	v_cmp_gt_u64_e32 vcc, s[0:1], v[9:10]
	v_mul_u32_u24_e32 v4, 21, v5
	v_cmp_le_u64_e64 s[0:1], s[0:1], v[9:10]
	v_sub_u32_e32 v22, v0, v4
	v_add3_u32 v3, v7, v3, v6
	v_add_u32_e32 v25, 21, v22
	v_add_u32_e32 v23, 42, v22
	s_and_saveexec_b64 s[2:3], s[0:1]
	s_xor_b64 s[0:1], exec, s[2:3]
; %bb.9:
	v_add_u32_e32 v29, 21, v22
	v_add_u32_e32 v28, 42, v22
; %bb.10:
	s_or_saveexec_b64 s[2:3], s[0:1]
	v_mul_u32_u24_e32 v0, 0x93, v1
	v_lshlrev_b64 v[12:13], 3, v[2:3]
	v_lshlrev_b32_e32 v0, 3, v0
	v_lshlrev_b32_e32 v1, 3, v22
	v_add_u32_e32 v24, 63, v22
	s_xor_b64 exec, exec, s[2:3]
	s_cbranch_execz .LBB0_12
; %bb.11:
	v_mad_u64_u32 v[2:3], s[0:1], s12, v22, 0
	v_mov_b32_e32 v6, s15
	v_add_u32_e32 v19, 0x69, v22
	v_mad_u64_u32 v[3:4], s[0:1], s13, v22, v[3:4]
	v_mad_u64_u32 v[4:5], s[0:1], s12, v25, 0
	v_add_co_u32_e64 v34, s[0:1], s14, v12
	v_lshlrev_b64 v[2:3], 3, v[2:3]
	v_addc_co_u32_e64 v35, s[0:1], v6, v13, s[0:1]
	v_mad_u64_u32 v[5:6], s[0:1], s13, v25, v[5:6]
	v_add_co_u32_e64 v2, s[0:1], v34, v2
	v_addc_co_u32_e64 v3, s[0:1], v35, v3, s[0:1]
	v_mad_u64_u32 v[6:7], s[0:1], s12, v23, 0
	v_mad_u64_u32 v[8:9], s[0:1], s12, v24, 0
	v_lshlrev_b64 v[4:5], 3, v[4:5]
	v_add_u32_e32 v21, 0x7e, v22
	v_mad_u64_u32 v[10:11], s[0:1], s13, v23, v[7:8]
	v_mov_b32_e32 v7, v9
	v_mad_u64_u32 v[14:15], s[0:1], s13, v24, v[7:8]
	v_mov_b32_e32 v7, v10
	v_add_co_u32_e64 v4, s[0:1], v34, v4
	v_lshlrev_b64 v[6:7], 3, v[6:7]
	v_addc_co_u32_e64 v5, s[0:1], v35, v5, s[0:1]
	v_mov_b32_e32 v9, v14
	v_add_co_u32_e64 v6, s[0:1], v34, v6
	v_add_u32_e32 v14, 0x54, v22
	v_addc_co_u32_e64 v7, s[0:1], v35, v7, s[0:1]
	v_mad_u64_u32 v[10:11], s[0:1], s12, v14, 0
	v_lshlrev_b64 v[8:9], 3, v[8:9]
	v_add_co_u32_e64 v8, s[0:1], v34, v8
	v_addc_co_u32_e64 v9, s[0:1], v35, v9, s[0:1]
	v_mad_u64_u32 v[14:15], s[0:1], s13, v14, v[11:12]
	v_mad_u64_u32 v[15:16], s[0:1], s12, v19, 0
	;; [unrolled: 1-line block ×3, first 2 shown]
	v_mov_b32_e32 v11, v16
	v_mad_u64_u32 v[19:20], s[0:1], s13, v19, v[11:12]
	v_mov_b32_e32 v11, v18
	v_mad_u64_u32 v[20:21], s[0:1], s13, v21, v[11:12]
	v_mov_b32_e32 v11, v14
	global_load_dwordx2 v[26:27], v[2:3], off
	global_load_dwordx2 v[28:29], v[4:5], off
	global_load_dwordx2 v[30:31], v[6:7], off
	global_load_dwordx2 v[32:33], v[8:9], off
	v_lshlrev_b64 v[2:3], 3, v[10:11]
	v_mov_b32_e32 v16, v19
	v_add_co_u32_e64 v2, s[0:1], v34, v2
	v_lshlrev_b64 v[4:5], 3, v[15:16]
	v_mov_b32_e32 v18, v20
	v_addc_co_u32_e64 v3, s[0:1], v35, v3, s[0:1]
	v_add_co_u32_e64 v4, s[0:1], v34, v4
	v_lshlrev_b64 v[6:7], 3, v[17:18]
	v_addc_co_u32_e64 v5, s[0:1], v35, v5, s[0:1]
	v_add_co_u32_e64 v6, s[0:1], v34, v6
	v_addc_co_u32_e64 v7, s[0:1], v35, v7, s[0:1]
	global_load_dwordx2 v[8:9], v[2:3], off
	global_load_dwordx2 v[10:11], v[4:5], off
	;; [unrolled: 1-line block ×3, first 2 shown]
	v_add3_u32 v2, 0, v0, v1
	s_waitcnt vmcnt(5)
	ds_write2_b64 v2, v[26:27], v[28:29] offset1:21
	s_waitcnt vmcnt(3)
	ds_write2_b64 v2, v[30:31], v[32:33] offset0:42 offset1:63
	s_waitcnt vmcnt(1)
	ds_write2_b64 v2, v[8:9], v[10:11] offset0:84 offset1:105
	s_waitcnt vmcnt(0)
	ds_write_b64 v2, v[14:15] offset:1008
	v_mov_b32_e32 v28, v23
	v_mov_b32_e32 v29, v25
.LBB0_12:
	s_or_b64 exec, exec, s[2:3]
	v_add3_u32 v27, 0, v1, v0
	s_waitcnt lgkmcnt(0)
	; wave barrier
	s_waitcnt lgkmcnt(0)
	ds_read2_b64 v[2:5], v27 offset0:21 offset1:42
	ds_read2_b64 v[6:9], v27 offset0:105 offset1:126
	s_mov_b32 s0, 0xbf5ff5aa
	s_mov_b32 s1, 0xbf3bfb3b
	v_mad_u32_u24 v36, v22, 48, v27
	s_mov_b32 s2, 0x3f3bfb3b
	s_waitcnt lgkmcnt(0)
	v_add_f32_e32 v14, v2, v8
	v_add_f32_e32 v15, v3, v9
	v_sub_f32_e32 v16, v2, v8
	v_sub_f32_e32 v3, v3, v9
	ds_read2_b64 v[8:11], v27 offset0:63 offset1:84
	v_add_f32_e32 v18, v5, v7
	v_sub_f32_e32 v5, v5, v7
	v_add_f32_e32 v17, v4, v6
	v_sub_f32_e32 v4, v4, v6
	s_waitcnt lgkmcnt(0)
	v_add_f32_e32 v7, v9, v11
	v_sub_f32_e32 v9, v11, v9
	v_add_u32_e32 v11, 0, v0
	v_add_u32_e32 v26, v11, v1
	ds_read_b64 v[1:2], v26
	v_add_f32_e32 v6, v8, v10
	v_sub_f32_e32 v8, v10, v8
	v_add_f32_e32 v10, v17, v14
	v_add_f32_e32 v10, v6, v10
	;; [unrolled: 1-line block ×4, first 2 shown]
	s_waitcnt lgkmcnt(0)
	v_add_f32_e32 v1, v1, v10
	v_sub_f32_e32 v20, v17, v14
	v_sub_f32_e32 v14, v14, v6
	;; [unrolled: 1-line block ×6, first 2 shown]
	v_add_f32_e32 v18, v8, v4
	v_add_f32_e32 v2, v2, v19
	v_sub_f32_e32 v21, v8, v4
	v_sub_f32_e32 v8, v16, v8
	;; [unrolled: 1-line block ×3, first 2 shown]
	v_add_f32_e32 v16, v18, v16
	v_add_f32_e32 v4, v9, v5
	v_sub_f32_e32 v18, v9, v5
	v_mov_b32_e32 v32, v1
	v_sub_f32_e32 v9, v3, v9
	v_sub_f32_e32 v5, v5, v3
	v_add_f32_e32 v31, v4, v3
	v_fmac_f32_e32 v32, 0xbf955555, v10
	v_mov_b32_e32 v10, v2
	v_mul_f32_e32 v3, 0x3f4a47b2, v14
	v_mul_f32_e32 v4, 0x3f4a47b2, v15
	;; [unrolled: 1-line block ×4, first 2 shown]
	v_fmac_f32_e32 v10, 0xbf955555, v19
	v_fma_f32 v18, v20, s1, -v3
	v_fmac_f32_e32 v3, 0x3d64c772, v6
	v_fma_f32 v19, v17, s1, -v4
	;; [unrolled: 2-line block ×4, first 2 shown]
	v_fmac_f32_e32 v15, 0xbeae86e6, v9
	v_add_f32_e32 v34, v3, v32
	v_add_f32_e32 v35, v4, v10
	v_fmac_f32_e32 v14, 0xbee1c552, v16
	v_fmac_f32_e32 v15, 0xbee1c552, v31
	v_add_f32_e32 v3, v34, v15
	v_sub_f32_e32 v4, v35, v14
	s_waitcnt lgkmcnt(0)
	; wave barrier
	ds_write2_b64 v36, v[1:2], v[3:4] offset1:1
	v_mul_f32_e32 v1, 0x3d64c772, v6
	v_mul_f32_e32 v2, 0x3d64c772, v7
	v_mul_f32_e32 v6, 0xbf5ff5aa, v30
	s_mov_b32 s3, 0x3eae86e6
	v_mul_f32_e32 v5, 0xbf5ff5aa, v5
	v_fma_f32 v1, v20, s2, -v1
	v_fma_f32 v2, v17, s2, -v2
	;; [unrolled: 1-line block ×4, first 2 shown]
	v_add_f32_e32 v3, v1, v32
	v_add_f32_e32 v4, v2, v10
	v_fmac_f32_e32 v21, 0xbee1c552, v16
	v_fmac_f32_e32 v33, 0xbee1c552, v31
	v_add_f32_e32 v9, v18, v32
	v_add_f32_e32 v10, v19, v10
	v_fmac_f32_e32 v8, 0xbee1c552, v16
	v_fmac_f32_e32 v7, 0xbee1c552, v31
	v_sub_f32_e32 v1, v3, v33
	v_add_f32_e32 v2, v21, v4
	v_add_f32_e32 v5, v7, v9
	v_sub_f32_e32 v6, v10, v8
	v_add_f32_e32 v3, v33, v3
	v_sub_f32_e32 v4, v4, v21
	v_sub_f32_e32 v7, v9, v7
	v_add_f32_e32 v8, v8, v10
	v_sub_f32_e32 v9, v34, v15
	v_add_f32_e32 v10, v14, v35
	ds_write2_b64 v36, v[5:6], v[1:2] offset0:2 offset1:3
	ds_write2_b64 v36, v[3:4], v[7:8] offset0:4 offset1:5
	ds_write_b64 v36, v[9:10] offset:48
	v_mov_b32_e32 v1, 37
	v_mul_lo_u16_sdwa v1, v22, v1 dst_sel:DWORD dst_unused:UNUSED_PAD src0_sel:BYTE_0 src1_sel:DWORD
	v_sub_u16_sdwa v2, v22, v1 dst_sel:DWORD dst_unused:UNUSED_PAD src0_sel:DWORD src1_sel:BYTE_1
	v_lshrrev_b16_e32 v2, 1, v2
	v_and_b32_e32 v2, 0x7f, v2
	v_add_u16_sdwa v1, v2, v1 dst_sel:DWORD dst_unused:UNUSED_PAD src0_sel:DWORD src1_sel:BYTE_1
	v_lshrrev_b16_e32 v9, 2, v1
	v_mul_lo_u16_e32 v1, 7, v9
	v_sub_u16_e32 v10, v22, v1
	v_mov_b32_e32 v1, 6
	v_mul_u32_u24_sdwa v1, v10, v1 dst_sel:DWORD dst_unused:UNUSED_PAD src0_sel:BYTE_0 src1_sel:DWORD
	v_lshlrev_b32_e32 v18, 3, v1
	s_waitcnt lgkmcnt(0)
	; wave barrier
	s_waitcnt lgkmcnt(0)
	global_load_dwordx4 v[1:4], v18, s[8:9] offset:16
	global_load_dwordx4 v[5:8], v18, s[8:9] offset:32
	global_load_dwordx4 v[14:17], v18, s[8:9]
	ds_read2_b64 v[18:21], v27 offset0:63 offset1:84
	ds_read2_b64 v[30:33], v27 offset0:105 offset1:126
	s_movk_i32 s4, 0x188
	s_waitcnt vmcnt(2) lgkmcnt(1)
	v_mul_f32_e32 v34, v2, v19
	v_mul_f32_e32 v2, v2, v18
	v_fmac_f32_e32 v34, v1, v18
	v_fma_f32 v18, v1, v19, -v2
	v_mul_f32_e32 v19, v4, v21
	v_mul_f32_e32 v1, v4, v20
	v_fmac_f32_e32 v19, v3, v20
	v_fma_f32 v20, v3, v21, -v1
	s_waitcnt vmcnt(1) lgkmcnt(0)
	v_mul_f32_e32 v21, v6, v31
	v_fmac_f32_e32 v21, v5, v30
	v_mul_f32_e32 v1, v6, v30
	v_lshl_add_u32 v30, v29, 3, v11
	v_fma_f32 v31, v5, v31, -v1
	v_mul_f32_e32 v1, v8, v32
	ds_read_b64 v[2:3], v30
	v_mul_f32_e32 v35, v8, v33
	v_fma_f32 v8, v7, v33, -v1
	v_lshl_add_u32 v1, v28, 3, v11
	v_fmac_f32_e32 v35, v7, v32
	ds_read_b64 v[4:5], v1
	ds_read_b64 v[6:7], v26
	s_waitcnt vmcnt(0) lgkmcnt(2)
	v_mul_f32_e32 v11, v15, v3
	v_fmac_f32_e32 v11, v14, v2
	v_mul_f32_e32 v2, v15, v2
	s_waitcnt lgkmcnt(1)
	v_mul_f32_e32 v15, v17, v5
	v_fma_f32 v14, v14, v3, -v2
	v_fmac_f32_e32 v15, v16, v4
	v_mul_f32_e32 v2, v17, v4
	v_fma_f32 v4, v16, v5, -v2
	v_add_f32_e32 v5, v11, v35
	v_add_f32_e32 v16, v15, v21
	;; [unrolled: 1-line block ×10, first 2 shown]
	s_waitcnt lgkmcnt(0)
	v_add_f32_e32 v2, v32, v6
	v_mov_b32_e32 v6, 3
	v_add_f32_e32 v3, v38, v7
	v_lshlrev_b32_sdwa v6, v6, v10 dst_sel:DWORD dst_unused:UNUSED_PAD src0_sel:DWORD src1_sel:BYTE_0
	v_mad_u32_u24 v7, v9, s4, 0
	v_add3_u32 v0, v7, v6, v0
	v_sub_f32_e32 v7, v14, v8
	v_sub_f32_e32 v8, v15, v21
	;; [unrolled: 1-line block ×6, first 2 shown]
	v_add_f32_e32 v18, v9, v8
	v_sub_f32_e32 v11, v16, v5
	v_sub_f32_e32 v5, v5, v17
	;; [unrolled: 1-line block ×7, first 2 shown]
	v_add_f32_e32 v6, v18, v6
	v_add_f32_e32 v18, v10, v4
	v_sub_f32_e32 v20, v10, v4
	v_sub_f32_e32 v15, v36, v33
	;; [unrolled: 1-line block ×5, first 2 shown]
	v_add_f32_e32 v7, v18, v7
	v_mov_b32_e32 v18, v2
	v_mov_b32_e32 v31, v3
	v_mul_f32_e32 v4, 0x3f4a47b2, v5
	v_mul_f32_e32 v5, 0x3f4a47b2, v16
	v_mul_f32_e32 v16, 0x3f08b237, v19
	v_mul_f32_e32 v19, 0x3f08b237, v20
	v_fmac_f32_e32 v18, 0xbf955555, v32
	v_fmac_f32_e32 v31, 0xbf955555, v38
	v_fma_f32 v20, v11, s1, -v4
	v_fmac_f32_e32 v4, 0x3d64c772, v14
	v_fma_f32 v32, v15, s1, -v5
	;; [unrolled: 2-line block ×4, first 2 shown]
	v_fmac_f32_e32 v19, 0xbeae86e6, v10
	v_add_f32_e32 v35, v4, v18
	v_add_f32_e32 v36, v5, v31
	v_fmac_f32_e32 v16, 0xbee1c552, v6
	v_fmac_f32_e32 v19, 0xbee1c552, v7
	v_add_f32_e32 v4, v19, v35
	v_sub_f32_e32 v5, v36, v16
	v_mul_f32_e32 v8, 0xbf5ff5aa, v8
	s_waitcnt lgkmcnt(0)
	; wave barrier
	ds_write2_b64 v0, v[2:3], v[4:5] offset1:7
	v_mul_f32_e32 v2, 0x3d64c772, v14
	v_mul_f32_e32 v3, 0x3d64c772, v17
	v_fma_f32 v9, v9, s3, -v8
	v_mul_f32_e32 v8, 0xbf5ff5aa, v21
	v_fma_f32 v2, v11, s2, -v2
	v_fma_f32 v3, v15, s2, -v3
	;; [unrolled: 1-line block ×3, first 2 shown]
	v_add_f32_e32 v4, v2, v18
	v_add_f32_e32 v5, v3, v31
	v_fmac_f32_e32 v33, 0xbee1c552, v6
	v_fmac_f32_e32 v34, 0xbee1c552, v7
	v_add_f32_e32 v10, v20, v18
	v_add_f32_e32 v11, v32, v31
	v_fmac_f32_e32 v9, 0xbee1c552, v6
	v_fmac_f32_e32 v8, 0xbee1c552, v7
	v_sub_f32_e32 v2, v4, v34
	v_add_f32_e32 v3, v33, v5
	v_add_f32_e32 v6, v8, v10
	v_sub_f32_e32 v7, v11, v9
	v_add_f32_e32 v4, v34, v4
	v_sub_f32_e32 v5, v5, v33
	v_sub_f32_e32 v8, v10, v8
	v_add_f32_e32 v9, v9, v11
	v_sub_f32_e32 v14, v35, v19
	v_add_f32_e32 v15, v16, v36
	ds_write2_b64 v0, v[6:7], v[2:3] offset0:14 offset1:21
	ds_write2_b64 v0, v[4:5], v[8:9] offset0:28 offset1:35
	ds_write_b64 v0, v[14:15] offset:336
	s_waitcnt lgkmcnt(0)
	; wave barrier
	s_waitcnt lgkmcnt(0)
	ds_read_b64 v[18:19], v26
	ds_read_b64 v[16:17], v30
	s_waitcnt lgkmcnt(1)
	ds_read_b32 v19, v26 offset:4
	ds_read2_b64 v[4:7], v27 offset0:49 offset1:70
	ds_read2_b64 v[8:11], v27 offset0:98 offset1:119
	v_cmp_gt_u32_e64 s[0:1], 7, v22
                                        ; implicit-def: $vgpr3
	s_and_saveexec_b64 s[2:3], s[0:1]
	s_cbranch_execz .LBB0_14
; %bb.13:
	ds_read_b64 v[14:15], v1
	ds_read2_b64 v[0:3], v27 offset0:91 offset1:140
.LBB0_14:
	s_or_b64 exec, exec, s[2:3]
	v_lshlrev_b32_e32 v20, 1, v22
	v_mov_b32_e32 v21, 0
	v_lshlrev_b64 v[31:32], 3, v[20:21]
	v_lshlrev_b32_e32 v20, 1, v29
	v_mov_b32_e32 v37, s9
	v_add_co_u32_e64 v31, s[2:3], s8, v31
	v_lshlrev_b64 v[35:36], 3, v[20:21]
	v_addc_co_u32_e64 v32, s[2:3], v37, v32, s[2:3]
	v_add_co_u32_e64 v35, s[2:3], s8, v35
	global_load_dwordx4 v[31:34], v[31:32], off offset:336
	v_addc_co_u32_e64 v36, s[2:3], v37, v36, s[2:3]
	global_load_dwordx4 v[35:38], v[35:36], off offset:336
	s_waitcnt lgkmcnt(0)
	; wave barrier
	s_waitcnt vmcnt(1) lgkmcnt(0)
	v_mul_f32_e32 v20, v32, v5
	v_mul_f32_e32 v29, v32, v4
	;; [unrolled: 1-line block ×4, first 2 shown]
	v_fmac_f32_e32 v20, v31, v4
	v_fma_f32 v4, v31, v5, -v29
	v_fmac_f32_e32 v32, v33, v8
	v_fma_f32 v5, v33, v9, -v34
	s_waitcnt vmcnt(0)
	v_mul_f32_e32 v8, v36, v7
	v_mul_f32_e32 v9, v36, v6
	;; [unrolled: 1-line block ×4, first 2 shown]
	v_fmac_f32_e32 v8, v35, v6
	v_fma_f32 v6, v35, v7, -v9
	v_fmac_f32_e32 v29, v37, v10
	v_fma_f32 v9, v37, v11, -v31
	v_add_f32_e32 v10, v20, v32
	v_add_f32_e32 v31, v19, v4
	v_add_f32_e32 v33, v4, v5
	v_add_f32_e32 v7, v20, v18
	v_sub_f32_e32 v11, v4, v5
	v_fmac_f32_e32 v18, -0.5, v10
	v_add_f32_e32 v5, v31, v5
	v_fmac_f32_e32 v19, -0.5, v33
	v_add_f32_e32 v31, v8, v29
	v_add_f32_e32 v34, v6, v9
	v_sub_f32_e32 v20, v20, v32
	v_add_f32_e32 v4, v7, v32
	v_add_f32_e32 v10, v16, v8
	v_sub_f32_e32 v32, v6, v9
	v_add_f32_e32 v33, v17, v6
	v_mov_b32_e32 v6, v18
	v_mov_b32_e32 v7, v19
	v_fma_f32 v16, -0.5, v31, v16
	v_fmac_f32_e32 v17, -0.5, v34
	v_sub_f32_e32 v35, v8, v29
	v_fmac_f32_e32 v18, 0x3f5db3d7, v11
	v_fmac_f32_e32 v19, 0xbf5db3d7, v20
	v_add_f32_e32 v8, v10, v29
	v_fmac_f32_e32 v6, 0xbf5db3d7, v11
	v_fmac_f32_e32 v7, 0x3f5db3d7, v20
	v_mov_b32_e32 v10, v16
	v_mov_b32_e32 v11, v17
	v_add_f32_e32 v9, v33, v9
	v_fmac_f32_e32 v16, 0x3f5db3d7, v32
	v_fmac_f32_e32 v17, 0xbf5db3d7, v35
	ds_write_b64 v27, v[18:19] offset:784
	v_fmac_f32_e32 v10, 0xbf5db3d7, v32
	v_fmac_f32_e32 v11, 0x3f5db3d7, v35
	ds_write2_b64 v27, v[4:5], v[6:7] offset1:49
	ds_write2_b64 v30, v[8:9], v[10:11] offset1:49
	ds_write_b64 v30, v[16:17] offset:784
	s_and_saveexec_b64 s[2:3], s[0:1]
	s_cbranch_execz .LBB0_16
; %bb.15:
	v_add_u32_e32 v4, -7, v22
	v_cndmask_b32_e64 v4, v4, v28, s[0:1]
	v_lshlrev_b32_e32 v20, 1, v4
	v_lshlrev_b64 v[4:5], 3, v[20:21]
	v_mov_b32_e32 v6, s9
	v_add_co_u32_e64 v4, s[0:1], s8, v4
	v_addc_co_u32_e64 v5, s[0:1], v6, v5, s[0:1]
	global_load_dwordx4 v[4:7], v[4:5], off offset:336
	s_waitcnt vmcnt(0)
	v_mul_f32_e32 v8, v0, v5
	v_mul_f32_e32 v9, v2, v7
	;; [unrolled: 1-line block ×4, first 2 shown]
	v_fma_f32 v1, v1, v4, -v8
	v_fma_f32 v3, v3, v6, -v9
	v_fmac_f32_e32 v5, v0, v4
	v_fmac_f32_e32 v7, v2, v6
	v_add_f32_e32 v0, v1, v3
	v_add_f32_e32 v4, v5, v7
	v_sub_f32_e32 v6, v5, v7
	v_add_f32_e32 v2, v15, v1
	v_sub_f32_e32 v8, v1, v3
	v_add_f32_e32 v5, v14, v5
	v_fma_f32 v1, -0.5, v0, v15
	v_fma_f32 v0, -0.5, v4, v14
	v_add_f32_e32 v3, v2, v3
	v_add_f32_e32 v2, v5, v7
	v_mov_b32_e32 v5, v1
	v_fmac_f32_e32 v1, 0x3f5db3d7, v6
	v_mov_b32_e32 v4, v0
	v_fmac_f32_e32 v0, 0xbf5db3d7, v8
	v_fmac_f32_e32 v5, 0xbf5db3d7, v6
	;; [unrolled: 1-line block ×3, first 2 shown]
	ds_write2_b64 v27, v[2:3], v[0:1] offset0:42 offset1:91
	ds_write_b64 v27, v[4:5] offset:1120
.LBB0_16:
	s_or_b64 exec, exec, s[2:3]
	s_waitcnt lgkmcnt(0)
	; wave barrier
	s_waitcnt lgkmcnt(0)
	s_and_saveexec_b64 s[0:1], vcc
	s_cbranch_execz .LBB0_18
; %bb.17:
	v_mad_u64_u32 v[4:5], s[0:1], s12, v22, 0
	v_add_co_u32_e32 v10, vcc, s14, v12
	v_mov_b32_e32 v0, v5
	v_mad_u64_u32 v[5:6], s[0:1], s13, v22, v[0:1]
	v_mov_b32_e32 v6, s15
	v_addc_co_u32_e32 v11, vcc, v6, v13, vcc
	v_mad_u64_u32 v[6:7], s[0:1], s12, v25, 0
	ds_read2_b64 v[0:3], v26 offset1:21
	v_lshlrev_b64 v[4:5], 3, v[4:5]
	v_mad_u64_u32 v[7:8], s[0:1], s13, v25, v[7:8]
	v_mad_u64_u32 v[8:9], s[0:1], s12, v23, 0
	v_add_co_u32_e32 v4, vcc, v10, v4
	v_addc_co_u32_e32 v5, vcc, v11, v5, vcc
	s_waitcnt lgkmcnt(0)
	global_store_dwordx2 v[4:5], v[0:1], off
	v_mov_b32_e32 v4, v9
	v_mad_u64_u32 v[4:5], s[0:1], s13, v23, v[4:5]
	v_lshlrev_b64 v[0:1], 3, v[6:7]
	v_mad_u64_u32 v[6:7], s[0:1], s12, v24, 0
	v_add_co_u32_e32 v0, vcc, v10, v0
	v_addc_co_u32_e32 v1, vcc, v11, v1, vcc
	v_mov_b32_e32 v9, v4
	global_store_dwordx2 v[0:1], v[2:3], off
	ds_read2_b64 v[0:3], v26 offset0:42 offset1:63
	v_lshlrev_b64 v[4:5], 3, v[8:9]
	v_mad_u64_u32 v[7:8], s[0:1], s13, v24, v[7:8]
	v_add_u32_e32 v12, 0x54, v22
	v_mad_u64_u32 v[8:9], s[0:1], s12, v12, 0
	v_add_co_u32_e32 v4, vcc, v10, v4
	v_addc_co_u32_e32 v5, vcc, v11, v5, vcc
	s_waitcnt lgkmcnt(0)
	global_store_dwordx2 v[4:5], v[0:1], off
	v_mov_b32_e32 v4, v9
	v_mad_u64_u32 v[4:5], s[0:1], s13, v12, v[4:5]
	v_lshlrev_b64 v[0:1], 3, v[6:7]
	v_add_u32_e32 v12, 0x7e, v22
	v_mov_b32_e32 v9, v4
	v_lshlrev_b64 v[4:5], 3, v[8:9]
	v_add_u32_e32 v8, 0x69, v22
	v_mad_u64_u32 v[6:7], s[0:1], s12, v8, 0
	v_add_co_u32_e32 v0, vcc, v10, v0
	v_addc_co_u32_e32 v1, vcc, v11, v1, vcc
	global_store_dwordx2 v[0:1], v[2:3], off
	ds_read2_b64 v[0:3], v26 offset0:84 offset1:105
	v_mad_u64_u32 v[7:8], s[0:1], s13, v8, v[7:8]
	v_mad_u64_u32 v[8:9], s[0:1], s12, v12, 0
	v_add_co_u32_e32 v4, vcc, v10, v4
	v_addc_co_u32_e32 v5, vcc, v11, v5, vcc
	s_waitcnt lgkmcnt(0)
	global_store_dwordx2 v[4:5], v[0:1], off
	v_mov_b32_e32 v4, v9
	v_lshlrev_b64 v[0:1], 3, v[6:7]
	v_mad_u64_u32 v[4:5], s[0:1], s13, v12, v[4:5]
	v_add_co_u32_e32 v0, vcc, v10, v0
	v_addc_co_u32_e32 v1, vcc, v11, v1, vcc
	global_store_dwordx2 v[0:1], v[2:3], off
	v_mov_b32_e32 v9, v4
	ds_read_b64 v[0:1], v26 offset:1008
	v_lshlrev_b64 v[2:3], 3, v[8:9]
	v_add_co_u32_e32 v2, vcc, v10, v2
	v_addc_co_u32_e32 v3, vcc, v11, v3, vcc
	s_waitcnt lgkmcnt(0)
	global_store_dwordx2 v[2:3], v[0:1], off
.LBB0_18:
	s_endpgm
	.section	.rodata,"a",@progbits
	.p2align	6, 0x0
	.amdhsa_kernel fft_rtc_back_len147_factors_7_7_3_wgs_63_tpt_21_sp_ip_CI_sbrr_dirReg
		.amdhsa_group_segment_fixed_size 0
		.amdhsa_private_segment_fixed_size 0
		.amdhsa_kernarg_size 88
		.amdhsa_user_sgpr_count 6
		.amdhsa_user_sgpr_private_segment_buffer 1
		.amdhsa_user_sgpr_dispatch_ptr 0
		.amdhsa_user_sgpr_queue_ptr 0
		.amdhsa_user_sgpr_kernarg_segment_ptr 1
		.amdhsa_user_sgpr_dispatch_id 0
		.amdhsa_user_sgpr_flat_scratch_init 0
		.amdhsa_user_sgpr_private_segment_size 0
		.amdhsa_uses_dynamic_stack 0
		.amdhsa_system_sgpr_private_segment_wavefront_offset 0
		.amdhsa_system_sgpr_workgroup_id_x 1
		.amdhsa_system_sgpr_workgroup_id_y 0
		.amdhsa_system_sgpr_workgroup_id_z 0
		.amdhsa_system_sgpr_workgroup_info 0
		.amdhsa_system_vgpr_workitem_id 0
		.amdhsa_next_free_vgpr 39
		.amdhsa_next_free_sgpr 24
		.amdhsa_reserve_vcc 1
		.amdhsa_reserve_flat_scratch 0
		.amdhsa_float_round_mode_32 0
		.amdhsa_float_round_mode_16_64 0
		.amdhsa_float_denorm_mode_32 3
		.amdhsa_float_denorm_mode_16_64 3
		.amdhsa_dx10_clamp 1
		.amdhsa_ieee_mode 1
		.amdhsa_fp16_overflow 0
		.amdhsa_exception_fp_ieee_invalid_op 0
		.amdhsa_exception_fp_denorm_src 0
		.amdhsa_exception_fp_ieee_div_zero 0
		.amdhsa_exception_fp_ieee_overflow 0
		.amdhsa_exception_fp_ieee_underflow 0
		.amdhsa_exception_fp_ieee_inexact 0
		.amdhsa_exception_int_div_zero 0
	.end_amdhsa_kernel
	.text
.Lfunc_end0:
	.size	fft_rtc_back_len147_factors_7_7_3_wgs_63_tpt_21_sp_ip_CI_sbrr_dirReg, .Lfunc_end0-fft_rtc_back_len147_factors_7_7_3_wgs_63_tpt_21_sp_ip_CI_sbrr_dirReg
                                        ; -- End function
	.section	.AMDGPU.csdata,"",@progbits
; Kernel info:
; codeLenInByte = 4180
; NumSgprs: 28
; NumVgprs: 39
; ScratchSize: 0
; MemoryBound: 0
; FloatMode: 240
; IeeeMode: 1
; LDSByteSize: 0 bytes/workgroup (compile time only)
; SGPRBlocks: 3
; VGPRBlocks: 9
; NumSGPRsForWavesPerEU: 28
; NumVGPRsForWavesPerEU: 39
; Occupancy: 6
; WaveLimiterHint : 1
; COMPUTE_PGM_RSRC2:SCRATCH_EN: 0
; COMPUTE_PGM_RSRC2:USER_SGPR: 6
; COMPUTE_PGM_RSRC2:TRAP_HANDLER: 0
; COMPUTE_PGM_RSRC2:TGID_X_EN: 1
; COMPUTE_PGM_RSRC2:TGID_Y_EN: 0
; COMPUTE_PGM_RSRC2:TGID_Z_EN: 0
; COMPUTE_PGM_RSRC2:TIDIG_COMP_CNT: 0
	.type	__hip_cuid_fe17966cc83a4ffb,@object ; @__hip_cuid_fe17966cc83a4ffb
	.section	.bss,"aw",@nobits
	.globl	__hip_cuid_fe17966cc83a4ffb
__hip_cuid_fe17966cc83a4ffb:
	.byte	0                               ; 0x0
	.size	__hip_cuid_fe17966cc83a4ffb, 1

	.ident	"AMD clang version 19.0.0git (https://github.com/RadeonOpenCompute/llvm-project roc-6.4.0 25133 c7fe45cf4b819c5991fe208aaa96edf142730f1d)"
	.section	".note.GNU-stack","",@progbits
	.addrsig
	.addrsig_sym __hip_cuid_fe17966cc83a4ffb
	.amdgpu_metadata
---
amdhsa.kernels:
  - .args:
      - .actual_access:  read_only
        .address_space:  global
        .offset:         0
        .size:           8
        .value_kind:     global_buffer
      - .offset:         8
        .size:           8
        .value_kind:     by_value
      - .actual_access:  read_only
        .address_space:  global
        .offset:         16
        .size:           8
        .value_kind:     global_buffer
      - .actual_access:  read_only
        .address_space:  global
        .offset:         24
        .size:           8
        .value_kind:     global_buffer
      - .offset:         32
        .size:           8
        .value_kind:     by_value
      - .actual_access:  read_only
        .address_space:  global
        .offset:         40
        .size:           8
        .value_kind:     global_buffer
      - .actual_access:  read_only
        .address_space:  global
        .offset:         48
        .size:           8
        .value_kind:     global_buffer
      - .offset:         56
        .size:           4
        .value_kind:     by_value
      - .actual_access:  read_only
        .address_space:  global
        .offset:         64
        .size:           8
        .value_kind:     global_buffer
      - .actual_access:  read_only
        .address_space:  global
        .offset:         72
        .size:           8
        .value_kind:     global_buffer
      - .address_space:  global
        .offset:         80
        .size:           8
        .value_kind:     global_buffer
    .group_segment_fixed_size: 0
    .kernarg_segment_align: 8
    .kernarg_segment_size: 88
    .language:       OpenCL C
    .language_version:
      - 2
      - 0
    .max_flat_workgroup_size: 63
    .name:           fft_rtc_back_len147_factors_7_7_3_wgs_63_tpt_21_sp_ip_CI_sbrr_dirReg
    .private_segment_fixed_size: 0
    .sgpr_count:     28
    .sgpr_spill_count: 0
    .symbol:         fft_rtc_back_len147_factors_7_7_3_wgs_63_tpt_21_sp_ip_CI_sbrr_dirReg.kd
    .uniform_work_group_size: 1
    .uses_dynamic_stack: false
    .vgpr_count:     39
    .vgpr_spill_count: 0
    .wavefront_size: 64
amdhsa.target:   amdgcn-amd-amdhsa--gfx906
amdhsa.version:
  - 1
  - 2
...

	.end_amdgpu_metadata
